;; amdgpu-corpus repo=ROCm/rocFFT kind=compiled arch=gfx1030 opt=O3
	.text
	.amdgcn_target "amdgcn-amd-amdhsa--gfx1030"
	.amdhsa_code_object_version 6
	.protected	fft_rtc_fwd_len96_factors_4_3_8_wgs_192_tpt_8_dim3_sp_ip_CI_sbcc_twdbase8_3step_dirReg ; -- Begin function fft_rtc_fwd_len96_factors_4_3_8_wgs_192_tpt_8_dim3_sp_ip_CI_sbcc_twdbase8_3step_dirReg
	.globl	fft_rtc_fwd_len96_factors_4_3_8_wgs_192_tpt_8_dim3_sp_ip_CI_sbcc_twdbase8_3step_dirReg
	.p2align	8
	.type	fft_rtc_fwd_len96_factors_4_3_8_wgs_192_tpt_8_dim3_sp_ip_CI_sbcc_twdbase8_3step_dirReg,@function
fft_rtc_fwd_len96_factors_4_3_8_wgs_192_tpt_8_dim3_sp_ip_CI_sbcc_twdbase8_3step_dirReg: ; @fft_rtc_fwd_len96_factors_4_3_8_wgs_192_tpt_8_dim3_sp_ip_CI_sbcc_twdbase8_3step_dirReg
; %bb.0:
	s_load_dwordx4 s[0:3], s[4:5], 0x10
	s_waitcnt lgkmcnt(0)
	s_load_dwordx2 s[10:11], s[0:1], 0x8
	s_waitcnt lgkmcnt(0)
	s_add_u32 s7, s10, -1
	s_addc_u32 s8, s11, -1
	s_add_u32 s9, 0, 0xaaaa0000
	s_addc_u32 s12, 0, 42
	s_mul_hi_u32 s14, s9, 0xffffffe8
	s_add_i32 s12, s12, 0xaaaaa80
	s_sub_i32 s14, s14, s9
	s_mul_i32 s16, s12, 0xffffffe8
	s_mul_i32 s13, s9, 0xffffffe8
	s_add_i32 s14, s14, s16
	s_mul_hi_u32 s15, s9, s13
	s_mul_i32 s18, s9, s14
	s_mul_hi_u32 s16, s9, s14
	s_mul_hi_u32 s17, s12, s13
	s_mul_i32 s13, s12, s13
	s_add_u32 s15, s15, s18
	s_addc_u32 s16, 0, s16
	s_mul_hi_u32 s19, s12, s14
	s_add_u32 s13, s15, s13
	s_mul_i32 s14, s12, s14
	s_addc_u32 s13, s16, s17
	s_addc_u32 s15, s19, 0
	s_add_u32 s13, s13, s14
	v_add_co_u32 v1, s9, s9, s13
	s_addc_u32 s13, 0, s15
	s_cmp_lg_u32 s9, 0
	s_addc_u32 s9, s12, s13
	v_readfirstlane_b32 s12, v1
	s_mul_i32 s14, s7, s9
	s_mul_hi_u32 s13, s7, s9
	s_mul_hi_u32 s15, s8, s9
	s_mul_i32 s9, s8, s9
	s_mul_hi_u32 s16, s7, s12
	s_mul_hi_u32 s17, s8, s12
	s_mul_i32 s12, s8, s12
	s_add_u32 s14, s16, s14
	s_addc_u32 s13, 0, s13
	s_add_u32 s12, s14, s12
	s_addc_u32 s12, s13, s17
	s_addc_u32 s13, s15, 0
	s_add_u32 s9, s12, s9
	s_addc_u32 s12, 0, s13
	s_mul_i32 s14, s9, 24
	s_add_u32 s13, s9, 1
	v_sub_co_u32 v1, s7, s7, s14
	s_mul_hi_u32 s14, s9, 24
	s_addc_u32 s15, s12, 0
	s_mul_i32 s16, s12, 24
	v_sub_co_u32 v2, s17, v1, 24
	s_add_u32 s18, s9, 2
	s_addc_u32 s19, s12, 0
	s_add_i32 s14, s14, s16
	s_cmp_lg_u32 s7, 0
	v_readfirstlane_b32 s7, v2
	s_subb_u32 s8, s8, s14
	s_cmp_lg_u32 s17, 0
	s_subb_u32 s14, s8, 0
	s_cmp_gt_u32 s7, 23
	s_cselect_b32 s7, -1, 0
	s_cmp_eq_u32 s14, 0
	v_readfirstlane_b32 s14, v1
	s_cselect_b32 s7, s7, -1
	s_cmp_lg_u32 s7, 0
	s_cselect_b32 s13, s18, s13
	s_cselect_b32 s15, s19, s15
	s_cmp_gt_u32 s14, 23
	s_mov_b64 s[18:19], 0
	s_cselect_b32 s7, -1, 0
	s_cmp_eq_u32 s8, 0
	s_cselect_b32 s7, s7, -1
	s_cmp_lg_u32 s7, 0
	s_mov_b32 s7, 0
	s_cselect_b32 s8, s13, s9
	s_cselect_b32 s9, s15, s12
	s_add_u32 s16, s8, 1
	s_addc_u32 s17, s9, 0
	v_cmp_lt_u64_e64 s8, s[6:7], s[16:17]
	s_and_b32 vcc_lo, exec_lo, s8
	s_cbranch_vccnz .LBB0_2
; %bb.1:
	v_cvt_f32_u32_e32 v1, s16
	s_sub_i32 s9, 0, s16
	s_mov_b32 s19, s7
	v_rcp_iflag_f32_e32 v1, v1
	v_mul_f32_e32 v1, 0x4f7ffffe, v1
	v_cvt_u32_f32_e32 v1, v1
	v_readfirstlane_b32 s8, v1
	s_mul_i32 s9, s9, s8
	s_mul_hi_u32 s9, s8, s9
	s_add_i32 s8, s8, s9
	s_mul_hi_u32 s8, s6, s8
	s_mul_i32 s9, s8, s16
	s_add_i32 s12, s8, 1
	s_sub_i32 s9, s6, s9
	s_sub_i32 s13, s9, s16
	s_cmp_ge_u32 s9, s16
	s_cselect_b32 s8, s12, s8
	s_cselect_b32 s9, s13, s9
	s_add_i32 s12, s8, 1
	s_cmp_ge_u32 s9, s16
	s_cselect_b32 s18, s12, s8
.LBB0_2:
	s_load_dwordx2 s[22:23], s[0:1], 0x10
	s_load_dwordx2 s[12:13], s[2:3], 0x8
	s_waitcnt lgkmcnt(0)
	v_cmp_lt_u64_e64 s0, s[18:19], s[22:23]
	s_and_b32 vcc_lo, exec_lo, s0
	s_mov_b64 s[0:1], s[18:19]
	s_cbranch_vccnz .LBB0_4
; %bb.3:
	v_cvt_f32_u32_e32 v1, s22
	s_sub_i32 s1, 0, s22
	v_rcp_iflag_f32_e32 v1, v1
	v_mul_f32_e32 v1, 0x4f7ffffe, v1
	v_cvt_u32_f32_e32 v1, v1
	v_readfirstlane_b32 s0, v1
	s_mul_i32 s1, s1, s0
	s_mul_hi_u32 s1, s0, s1
	s_add_i32 s0, s0, s1
	s_mul_hi_u32 s0, s18, s0
	s_mul_i32 s0, s0, s22
	s_sub_i32 s0, s18, s0
	s_sub_i32 s1, s0, s22
	s_cmp_ge_u32 s0, s22
	s_cselect_b32 s0, s1, s0
	s_sub_i32 s1, s0, s22
	s_cmp_ge_u32 s0, s22
	s_cselect_b32 s0, s1, s0
.LBB0_4:
	s_load_dwordx2 s[14:15], s[4:5], 0x50
	s_clause 0x1
	s_load_dwordx2 s[8:9], s[2:3], 0x0
	s_load_dwordx2 s[20:21], s[2:3], 0x10
	s_mul_i32 s1, s22, s17
	s_mul_hi_u32 s19, s22, s16
	s_mul_i32 s24, s22, s16
	s_add_i32 s1, s19, s1
	s_mul_i32 s19, s23, s16
	s_mov_b64 s[22:23], 0
	s_add_i32 s25, s1, s19
	v_cmp_lt_u64_e64 s1, s[6:7], s[24:25]
	s_and_b32 vcc_lo, exec_lo, s1
	s_cbranch_vccnz .LBB0_6
; %bb.5:
	v_cvt_f32_u32_e32 v1, s24
	s_sub_i32 s7, 0, s24
	v_rcp_iflag_f32_e32 v1, v1
	v_mul_f32_e32 v1, 0x4f7ffffe, v1
	v_cvt_u32_f32_e32 v1, v1
	v_readfirstlane_b32 s1, v1
	s_mul_i32 s7, s7, s1
	s_mul_hi_u32 s7, s1, s7
	s_add_i32 s1, s1, s7
	s_mul_hi_u32 s1, s6, s1
	s_mul_i32 s7, s1, s24
	s_add_i32 s19, s1, 1
	s_sub_i32 s7, s6, s7
	s_sub_i32 s22, s7, s24
	s_cmp_ge_u32 s7, s24
	s_cselect_b32 s1, s19, s1
	s_cselect_b32 s7, s22, s7
	s_add_i32 s19, s1, 1
	s_cmp_ge_u32 s7, s24
	s_cselect_b32 s22, s19, s1
.LBB0_6:
	s_load_dwordx2 s[2:3], s[2:3], 0x18
	s_mul_i32 s1, s18, s17
	s_mul_hi_u32 s7, s18, s16
	v_mul_u32_u24_e32 v1, 0xaab, v0
	s_mul_i32 s16, s18, s16
	s_add_i32 s7, s7, s1
	s_sub_u32 s1, s6, s16
	s_subb_u32 s6, 0, s7
	v_lshrrev_b32_e32 v99, 16, v1
	s_mul_i32 s6, s6, 24
	s_mul_hi_u32 s7, s1, 24
	s_mul_i32 s17, s1, 24
	s_add_i32 s16, s7, s6
	s_mul_hi_u32 s6, s12, s17
	s_mul_i32 s1, s12, s16
	v_mul_lo_u16 v1, v99, 24
	s_add_i32 s1, s6, s1
	s_mul_i32 s18, s13, s17
	s_load_dwordx2 s[6:7], s[4:5], 0x0
	s_add_i32 s1, s1, s18
	s_waitcnt lgkmcnt(0)
	s_mul_i32 s18, s21, s0
	s_mul_hi_u32 s19, s20, s0
	s_mul_i32 s21, s12, s17
	s_mul_i32 s0, s20, s0
	v_sub_nc_u16 v26, v0, v1
	s_add_i32 s19, s19, s18
	s_mul_i32 s3, s3, s22
	s_mul_hi_u32 s18, s2, s22
	s_add_u32 s0, s0, s21
	s_mul_i32 s2, s2, s22
	s_addc_u32 s1, s19, s1
	s_add_i32 s18, s18, s3
	s_add_u32 s2, s2, s0
	s_addc_u32 s3, s18, s1
	v_and_b32_e32 v102, 0xffff, v26
	s_add_u32 s0, s17, 24
	s_addc_u32 s1, s16, 0
	v_add_nc_u32_e32 v28, 24, v99
	v_cmp_gt_u64_e64 s18, s[0:1], s[10:11]
	v_add_co_u32 v29, s17, s17, v102
	v_cmp_le_u64_e64 s1, s[0:1], s[10:11]
	v_add_co_ci_u32_e64 v30, null, s16, 0, s17
	v_add_nc_u32_e32 v31, 8, v99
	v_or_b32_e32 v101, 32, v99
	v_or_b32_e32 v100, 0x50, v99
	;; [unrolled: 1-line block ×3, first 2 shown]
	s_and_b32 vcc_lo, exec_lo, s18
	s_mov_b32 s0, 0
	s_cbranch_vccnz .LBB0_8
; %bb.7:
	v_mad_u64_u32 v[1:2], null, s12, v102, 0
	v_mad_u64_u32 v[3:4], null, s8, v99, 0
	v_add_nc_u32_e32 v27, 24, v99
	v_or_b32_e32 v14, 48, v99
	v_add_nc_u32_e32 v15, 0x48, v99
	s_lshl_b64 s[16:17], s[2:3], 3
	v_add_nc_u32_e32 v25, 8, v99
	s_add_u32 s16, s14, s16
	v_mad_u64_u32 v[5:6], null, s13, v102, v[2:3]
	v_mad_u64_u32 v[6:7], null, s8, v27, 0
	;; [unrolled: 1-line block ×4, first 2 shown]
	v_mov_b32_e32 v2, v5
	v_mad_u64_u32 v[4:5], null, s9, v99, v[4:5]
	v_mov_b32_e32 v5, v7
	s_addc_u32 s17, s15, s17
	v_lshlrev_b64 v[1:2], 3, v[1:2]
	v_add_nc_u32_e32 v22, 56, v99
	v_or_b32_e32 v33, 16, v99
	v_mad_u64_u32 v[12:13], null, s9, v27, v[5:6]
	v_mov_b32_e32 v5, v9
	v_add_co_u32 v41, vcc_lo, s16, v1
	v_add_co_ci_u32_e32 v42, vcc_lo, s17, v2, vcc_lo
	v_lshlrev_b64 v[1:2], 3, v[3:4]
	v_mov_b32_e32 v7, v12
	v_mad_u64_u32 v[3:4], null, s9, v14, v[5:6]
	v_mov_b32_e32 v4, v11
	v_mad_u64_u32 v[16:17], null, s8, v22, 0
	v_lshlrev_b64 v[5:6], 3, v[6:7]
	v_add_co_u32 v1, vcc_lo, v41, v1
	v_mov_b32_e32 v9, v3
	v_add_co_ci_u32_e32 v2, vcc_lo, v42, v2, vcc_lo
	v_mad_u64_u32 v[11:12], null, s9, v15, v[4:5]
	v_mad_u64_u32 v[12:13], null, s8, v25, 0
	v_lshlrev_b64 v[3:4], 3, v[8:9]
	v_add_co_u32 v5, vcc_lo, v41, v5
	v_add_co_ci_u32_e32 v6, vcc_lo, v42, v6, vcc_lo
	v_mad_u64_u32 v[14:15], null, s8, v101, 0
	v_mov_b32_e32 v7, v13
	v_add_co_u32 v8, vcc_lo, v41, v3
	v_add_co_ci_u32_e32 v9, vcc_lo, v42, v4, vcc_lo
	v_lshlrev_b64 v[3:4], 3, v[10:11]
	v_mad_u64_u32 v[10:11], null, s9, v25, v[7:8]
	v_mov_b32_e32 v7, v15
	v_add_nc_u32_e32 v34, 40, v99
	v_or_b32_e32 v39, 64, v99
	v_add_co_u32 v18, vcc_lo, v41, v3
	v_mad_u64_u32 v[20:21], null, s9, v101, v[7:8]
	v_mov_b32_e32 v13, v10
	v_mov_b32_e32 v10, v17
	v_add_co_ci_u32_e32 v19, vcc_lo, v42, v4, vcc_lo
	s_clause 0x3
	global_load_dwordx2 v[3:4], v[1:2], off
	global_load_dwordx2 v[1:2], v[5:6], off
	global_load_dwordx2 v[7:8], v[8:9], off
	global_load_dwordx2 v[5:6], v[18:19], off
	v_lshlrev_b64 v[11:12], 3, v[12:13]
	v_mad_u64_u32 v[18:19], null, s8, v100, 0
	v_mov_b32_e32 v15, v20
	v_add_nc_u32_e32 v40, 0x58, v99
	v_mad_u64_u32 v[9:10], null, s9, v22, v[10:11]
	v_add_co_u32 v10, vcc_lo, v41, v11
	v_add_co_ci_u32_e32 v11, vcc_lo, v42, v12, vcc_lo
	v_lshlrev_b64 v[12:13], 3, v[14:15]
	v_mad_u64_u32 v[14:15], null, s8, v33, 0
	v_mov_b32_e32 v17, v9
	v_mov_b32_e32 v9, v19
	v_add_co_u32 v12, vcc_lo, v41, v12
	v_add_co_ci_u32_e32 v13, vcc_lo, v42, v13, vcc_lo
	v_mad_u64_u32 v[19:20], null, s9, v100, v[9:10]
	v_mad_u64_u32 v[20:21], null, s8, v34, 0
	v_mov_b32_e32 v9, v15
	v_lshlrev_b64 v[15:16], 3, v[16:17]
	v_mad_u64_u32 v[22:23], null, s9, v33, v[9:10]
	v_mov_b32_e32 v9, v21
	v_mad_u64_u32 v[23:24], null, s8, v39, 0
	v_add_co_u32 v37, vcc_lo, v41, v15
	v_mad_u64_u32 v[34:35], null, s9, v34, v[9:10]
	v_mad_u64_u32 v[35:36], null, s8, v40, 0
	v_mov_b32_e32 v9, v24
	v_add_co_ci_u32_e32 v38, vcc_lo, v42, v16, vcc_lo
	v_lshlrev_b64 v[16:17], 3, v[18:19]
	v_mov_b32_e32 v15, v22
	v_mad_u64_u32 v[18:19], null, s9, v39, v[9:10]
	v_mov_b32_e32 v9, v36
	v_mov_b32_e32 v21, v34
	v_lshlrev_b64 v[14:15], 3, v[14:15]
	v_add_co_u32 v16, vcc_lo, v41, v16
	v_mad_u64_u32 v[39:40], null, s9, v40, v[9:10]
	v_mov_b32_e32 v24, v18
	v_lshlrev_b64 v[19:20], 3, v[20:21]
	v_add_co_ci_u32_e32 v17, vcc_lo, v42, v17, vcc_lo
	v_add_co_u32 v14, vcc_lo, v41, v14
	v_mov_b32_e32 v36, v39
	v_lshlrev_b64 v[21:22], 3, v[23:24]
	v_add_co_ci_u32_e32 v15, vcc_lo, v42, v15, vcc_lo
	v_add_co_u32 v39, vcc_lo, v41, v19
	v_lshlrev_b64 v[18:19], 3, v[35:36]
	v_add_co_ci_u32_e32 v40, vcc_lo, v42, v20, vcc_lo
	v_add_co_u32 v34, vcc_lo, v41, v21
	v_add_co_ci_u32_e32 v35, vcc_lo, v42, v22, vcc_lo
	v_add_co_u32 v41, vcc_lo, v41, v18
	v_add_co_ci_u32_e32 v42, vcc_lo, v42, v19, vcc_lo
	s_clause 0x7
	global_load_dwordx2 v[21:22], v[10:11], off
	global_load_dwordx2 v[19:20], v[12:13], off
	;; [unrolled: 1-line block ×8, first 2 shown]
	s_andn2_b32 vcc_lo, exec_lo, s0
	s_cbranch_vccz .LBB0_9
	s_branch .LBB0_14
.LBB0_8:
                                        ; implicit-def: $vgpr17
                                        ; implicit-def: $vgpr13
                                        ; implicit-def: $vgpr15
                                        ; implicit-def: $vgpr9
                                        ; implicit-def: $vgpr11
                                        ; implicit-def: $vgpr23
                                        ; implicit-def: $vgpr19
                                        ; implicit-def: $vgpr21
                                        ; implicit-def: $vgpr5
                                        ; implicit-def: $vgpr7
                                        ; implicit-def: $vgpr1
                                        ; implicit-def: $vgpr3
                                        ; implicit-def: $vgpr25
                                        ; implicit-def: $vgpr33
                                        ; implicit-def: $vgpr27
.LBB0_9:
	s_mov_b32 s0, exec_lo
                                        ; implicit-def: $vgpr25
                                        ; implicit-def: $vgpr33
                                        ; implicit-def: $vgpr27
	v_cmpx_le_u64_e64 s[10:11], v[29:30]
	s_xor_b32 s0, exec_lo, s0
; %bb.10:
	v_add_nc_u32_e32 v25, 8, v99
	v_or_b32_e32 v33, 16, v99
	v_add_nc_u32_e32 v27, 24, v99
                                        ; implicit-def: $vgpr28
                                        ; implicit-def: $vgpr31
                                        ; implicit-def: $vgpr32
; %bb.11:
	s_or_saveexec_b32 s0, s0
                                        ; implicit-def: $vgpr17
                                        ; implicit-def: $vgpr13
                                        ; implicit-def: $vgpr15
                                        ; implicit-def: $vgpr9
                                        ; implicit-def: $vgpr11
                                        ; implicit-def: $vgpr23
                                        ; implicit-def: $vgpr19
                                        ; implicit-def: $vgpr21
                                        ; implicit-def: $vgpr5
                                        ; implicit-def: $vgpr7
                                        ; implicit-def: $vgpr1
                                        ; implicit-def: $vgpr3
	s_xor_b32 exec_lo, exec_lo, s0
	s_cbranch_execz .LBB0_13
; %bb.12:
	s_waitcnt vmcnt(10)
	v_mad_u64_u32 v[1:2], null, s12, v102, 0
	v_mad_u64_u32 v[3:4], null, s8, v99, 0
	s_waitcnt vmcnt(8)
	v_mad_u64_u32 v[5:6], null, s8, v28, 0
	s_waitcnt vmcnt(3)
	v_or_b32_e32 v11, 48, v99
	v_add_nc_u32_e32 v12, 0x48, v99
	s_lshl_b64 s[16:17], s[2:3], 3
	v_add_nc_u32_e32 v20, 56, v99
	v_mad_u64_u32 v[7:8], null, s13, v102, v[2:3]
	s_waitcnt vmcnt(2)
	v_mad_u64_u32 v[8:9], null, s9, v99, v[4:5]
	v_mov_b32_e32 v4, v6
	v_mad_u64_u32 v[9:10], null, s8, v11, 0
	s_add_u32 s16, s14, s16
	v_mov_b32_e32 v2, v7
	v_mad_u64_u32 v[6:7], null, s9, v28, v[4:5]
	v_mov_b32_e32 v4, v8
	v_mad_u64_u32 v[7:8], null, s8, v12, 0
	v_lshlrev_b64 v[1:2], 3, v[1:2]
	s_addc_u32 s17, s15, s17
	v_lshlrev_b64 v[3:4], 3, v[3:4]
	v_lshlrev_b64 v[5:6], 3, v[5:6]
	v_add_nc_u32_e32 v25, 40, v99
	v_or_b32_e32 v36, 64, v99
	v_add_co_u32 v27, vcc_lo, s16, v1
	v_add_co_ci_u32_e32 v41, vcc_lo, s17, v2, vcc_lo
	v_mad_u64_u32 v[1:2], null, s9, v11, v[10:11]
	v_mov_b32_e32 v2, v8
	v_add_co_u32 v3, vcc_lo, v27, v3
	v_add_co_ci_u32_e32 v4, vcc_lo, v41, v4, vcc_lo
	v_mad_u64_u32 v[23:24], null, s8, v36, 0
	v_mad_u64_u32 v[11:12], null, s9, v12, v[2:3]
	s_waitcnt vmcnt(0)
	v_mad_u64_u32 v[12:13], null, s8, v31, 0
	v_mov_b32_e32 v10, v1
	v_add_co_u32 v1, vcc_lo, v27, v5
	v_add_co_ci_u32_e32 v2, vcc_lo, v41, v6, vcc_lo
	v_lshlrev_b64 v[5:6], 3, v[9:10]
	v_mov_b32_e32 v8, v11
	v_mad_u64_u32 v[10:11], null, s8, v101, 0
	v_mov_b32_e32 v9, v13
	v_lshlrev_b64 v[7:8], 3, v[7:8]
	v_add_co_u32 v5, vcc_lo, v27, v5
	v_add_co_ci_u32_e32 v6, vcc_lo, v41, v6, vcc_lo
	v_mad_u64_u32 v[13:14], null, s9, v31, v[9:10]
	v_mad_u64_u32 v[14:15], null, s8, v20, 0
	v_mov_b32_e32 v9, v11
	v_add_co_u32 v16, vcc_lo, v27, v7
	v_add_co_ci_u32_e32 v17, vcc_lo, v41, v8, vcc_lo
	v_mad_u64_u32 v[18:19], null, s9, v101, v[9:10]
	v_mov_b32_e32 v9, v15
	s_clause 0x3
	global_load_dwordx2 v[3:4], v[3:4], off
	global_load_dwordx2 v[1:2], v[1:2], off
	;; [unrolled: 1-line block ×4, first 2 shown]
	v_lshlrev_b64 v[12:13], 3, v[12:13]
	v_mad_u64_u32 v[15:16], null, s9, v20, v[9:10]
	v_mad_u64_u32 v[16:17], null, s8, v100, 0
	v_mov_b32_e32 v11, v18
	v_add_co_u32 v12, vcc_lo, v27, v12
	v_mad_u64_u32 v[18:19], null, s8, v32, 0
	v_lshlrev_b64 v[9:10], 3, v[10:11]
	v_mov_b32_e32 v11, v17
	v_lshlrev_b64 v[14:15], 3, v[14:15]
	v_add_co_ci_u32_e32 v13, vcc_lo, v41, v13, vcc_lo
	v_mad_u64_u32 v[20:21], null, s9, v100, v[11:12]
	v_mad_u64_u32 v[21:22], null, s8, v25, 0
	v_mov_b32_e32 v11, v19
	v_add_co_u32 v9, vcc_lo, v27, v9
	v_add_co_ci_u32_e32 v10, vcc_lo, v41, v10, vcc_lo
	v_mov_b32_e32 v17, v20
	v_mad_u64_u32 v[19:20], null, s9, v32, v[11:12]
	v_mov_b32_e32 v11, v22
	v_add_nc_u32_e32 v20, 0x58, v99
	v_lshlrev_b64 v[16:17], 3, v[16:17]
	v_add_co_u32 v14, vcc_lo, v27, v14
	v_mad_u64_u32 v[33:34], null, s9, v25, v[11:12]
	v_mad_u64_u32 v[34:35], null, s8, v20, 0
	v_mov_b32_e32 v11, v24
	v_lshlrev_b64 v[18:19], 3, v[18:19]
	v_add_co_ci_u32_e32 v15, vcc_lo, v41, v15, vcc_lo
	v_mov_b32_e32 v22, v33
	v_mad_u64_u32 v[24:25], null, s9, v36, v[11:12]
	v_mov_b32_e32 v11, v35
	v_add_co_u32 v16, vcc_lo, v27, v16
	v_add_co_ci_u32_e32 v17, vcc_lo, v41, v17, vcc_lo
	v_mad_u64_u32 v[35:36], null, s9, v20, v[11:12]
	v_lshlrev_b64 v[20:21], 3, v[21:22]
	v_add_co_u32 v36, vcc_lo, v27, v18
	v_add_co_ci_u32_e32 v37, vcc_lo, v41, v19, vcc_lo
	v_lshlrev_b64 v[18:19], 3, v[23:24]
	v_add_co_u32 v38, vcc_lo, v27, v20
	v_add_co_ci_u32_e32 v39, vcc_lo, v41, v21, vcc_lo
	;; [unrolled: 3-line block ×3, first 2 shown]
	v_mov_b32_e32 v25, v31
	v_add_co_u32 v40, vcc_lo, v27, v20
	v_add_co_ci_u32_e32 v41, vcc_lo, v41, v21, vcc_lo
	s_clause 0x7
	global_load_dwordx2 v[21:22], v[12:13], off
	global_load_dwordx2 v[19:20], v[9:10], off
	;; [unrolled: 1-line block ×8, first 2 shown]
	v_mov_b32_e32 v33, v32
	v_mov_b32_e32 v27, v28
.LBB0_13:
	s_or_b32 exec_lo, exec_lo, s0
.LBB0_14:
	s_waitcnt vmcnt(5)
	v_sub_f32_e32 v23, v21, v23
	s_waitcnt vmcnt(4)
	v_sub_f32_e32 v31, v19, v17
	v_sub_f32_e32 v28, v3, v7
	;; [unrolled: 1-line block ×6, first 2 shown]
	v_fma_f32 v21, v21, 2.0, -v23
	v_fma_f32 v17, v19, 2.0, -v31
	v_sub_f32_e32 v5, v2, v6
	v_add_f32_e32 v6, v8, v7
	v_fma_f32 v22, v22, 2.0, -v24
	v_fma_f32 v19, v20, 2.0, -v32
	;; [unrolled: 1-line block ×3, first 2 shown]
	v_sub_f32_e32 v7, v21, v17
	v_fma_f32 v4, v4, 2.0, -v8
	v_fma_f32 v2, v2, 2.0, -v5
	v_sub_f32_e32 v5, v28, v5
	v_fma_f32 v18, v8, 2.0, -v6
	v_sub_f32_e32 v8, v22, v19
	v_fma_f32 v19, v21, 2.0, -v7
	s_waitcnt vmcnt(1)
	v_sub_f32_e32 v34, v12, v16
	s_waitcnt vmcnt(0)
	v_sub_f32_e32 v21, v10, v14
	v_fma_f32 v3, v3, 2.0, -v28
	v_fma_f32 v17, v28, 2.0, -v5
	v_sub_f32_e32 v28, v11, v15
	v_sub_f32_e32 v35, v9, v13
	;; [unrolled: 1-line block ×3, first 2 shown]
	v_fma_f32 v20, v22, 2.0, -v8
	v_mul_u32_u24_e32 v22, 0x60, v99
	v_mov_b32_e32 v59, 3
	v_fma_f32 v16, v12, 2.0, -v34
	v_fma_f32 v10, v10, 2.0, -v21
	v_add_f32_e32 v14, v24, v31
	v_sub_f32_e32 v1, v3, v1
	v_sub_f32_e32 v2, v4, v2
	v_fma_f32 v15, v11, 2.0, -v28
	v_fma_f32 v11, v9, 2.0, -v35
	;; [unrolled: 1-line block ×3, first 2 shown]
	v_lshlrev_b32_e32 v23, 3, v22
	v_lshlrev_b32_sdwa v36, v59, v26 dst_sel:DWORD dst_unused:UNUSED_PAD src0_sel:DWORD src1_sel:WORD_0
	v_sub_f32_e32 v12, v16, v10
	v_fma_f32 v10, v24, 2.0, -v14
	v_mul_i32_i24_e32 v24, 0x60, v25
	v_mul_i32_i24_e32 v26, 0x60, v33
	v_fma_f32 v3, v3, 2.0, -v1
	v_fma_f32 v4, v4, 2.0, -v2
	v_add3_u32 v32, 0, v23, v36
	v_sub_f32_e32 v21, v28, v21
	v_lshlrev_b32_e32 v31, 3, v24
	v_sub_f32_e32 v11, v15, v11
	v_add_f32_e32 v22, v34, v35
	v_lshlrev_b32_e32 v26, 3, v26
	ds_write2_b64 v32, v[3:4], v[17:18] offset1:24
	v_and_b32_e32 v18, 3, v99
	v_fma_f32 v23, v28, 2.0, -v21
	v_add3_u32 v28, 0, v31, v36
	v_fma_f32 v15, v15, 2.0, -v11
	v_fma_f32 v16, v16, 2.0, -v12
	;; [unrolled: 1-line block ×3, first 2 shown]
	v_add3_u32 v17, 0, v26, v36
	ds_write2_b64 v32, v[1:2], v[5:6] offset0:48 offset1:72
	ds_write2_b64 v28, v[19:20], v[9:10] offset1:24
	ds_write2_b64 v28, v[7:8], v[13:14] offset0:48 offset1:72
	ds_write2_b64 v17, v[15:16], v[23:24] offset1:24
	v_lshlrev_b32_e32 v1, 4, v18
	v_lshrrev_b32_e32 v5, 2, v25
	ds_write2_b64 v17, v[11:12], v[21:22] offset0:48 offset1:72
	s_waitcnt lgkmcnt(0)
	s_barrier
	buffer_gl0_inv
	global_load_dwordx4 v[1:4], v1, s[6:7]
	v_lshrrev_b32_e32 v7, 2, v33
	v_lshrrev_b32_e32 v6, 2, v99
	;; [unrolled: 1-line block ×3, first 2 shown]
	v_mul_lo_u32 v5, v5, 12
	v_mul_i32_i24_e32 v9, 0xc0, v27
	v_mul_lo_u32 v7, v7, 12
	v_mul_u32_u24_e32 v6, 12, v6
	v_mul_lo_u32 v8, v8, 12
	v_mad_i32_i24 v24, 0xfffffdc0, v33, v17
	v_add3_u32 v39, 0, v9, v36
	v_cmp_gt_u32_e64 s0, 0x60, v0
	v_or_b32_e32 v11, v6, v18
	v_or_b32_e32 v15, v5, v18
	v_mad_i32_i24 v5, 0xfffffdc0, v99, v32
	v_or_b32_e32 v19, v7, v18
	v_or_b32_e32 v23, v8, v18
	v_mad_i32_i24 v6, 0xfffffdc0, v25, v28
	v_mul_u32_u24_e32 v28, 0xc0, v11
	ds_read2st64_b64 v[7:10], v5 offset1:12
	ds_read2st64_b64 v[11:14], v5 offset0:21 offset1:24
	v_mul_lo_u32 v35, 0xc0, v15
	ds_read2st64_b64 v[15:18], v5 offset0:15 offset1:18
	v_mul_lo_u32 v37, 0xc0, v19
	ds_read2st64_b64 v[19:22], v5 offset0:27 offset1:30
	v_mul_lo_u32 v38, 0xc0, v23
	ds_read_b64 v[31:32], v24
	ds_read_b64 v[33:34], v39
	;; [unrolled: 1-line block ×3, first 2 shown]
	ds_read_b64 v[26:27], v5 offset:16896
	v_add3_u32 v28, 0, v28, v36
	v_add_nc_u32_e32 v40, 0x100, v5
	v_add3_u32 v41, 0, v35, v36
	s_waitcnt vmcnt(0) lgkmcnt(0)
	v_add3_u32 v42, 0, v37, v36
	s_barrier
	v_add3_u32 v43, 0, v38, v36
	buffer_gl0_inv
	s_mov_b32 s16, 0
	v_mul_f32_e32 v35, v2, v10
	v_mul_f32_e32 v36, v2, v9
	;; [unrolled: 1-line block ×16, first 2 shown]
	v_fma_f32 v4, v1, v9, -v35
	v_fmac_f32_e32 v36, v1, v10
	v_fma_f32 v9, v3, v13, -v37
	v_fmac_f32_e32 v38, v3, v14
	;; [unrolled: 2-line block ×8, first 2 shown]
	v_add_f32_e32 v3, v4, v9
	v_add_f32_e32 v18, v36, v38
	;; [unrolled: 1-line block ×4, first 2 shown]
	v_sub_f32_e32 v22, v45, v47
	v_add_f32_e32 v26, v24, v45
	v_add_f32_e32 v35, v14, v15
	;; [unrolled: 1-line block ×4, first 2 shown]
	v_sub_f32_e32 v16, v36, v38
	v_add_f32_e32 v17, v8, v36
	v_sub_f32_e32 v19, v4, v9
	v_add_f32_e32 v20, v23, v10
	v_sub_f32_e32 v37, v10, v13
	v_add_f32_e32 v10, v31, v14
	v_sub_f32_e32 v46, v14, v15
	v_add_f32_e32 v14, v33, v11
	v_add_f32_e32 v48, v11, v12
	v_add_f32_e32 v52, v2, v54
	v_fma_f32 v3, -0.5, v3, v7
	v_fma_f32 v4, -0.5, v18, v8
	;; [unrolled: 1-line block ×3, first 2 shown]
	v_fmac_f32_e32 v24, -0.5, v27
	v_sub_f32_e32 v44, v49, v51
	v_add_f32_e32 v36, v32, v49
	v_fma_f32 v31, -0.5, v35, v31
	v_fmac_f32_e32 v32, -0.5, v45
	v_sub_f32_e32 v49, v2, v54
	v_add_f32_e32 v50, v34, v2
	v_sub_f32_e32 v53, v11, v12
	v_add_f32_e32 v1, v1, v9
	v_add_f32_e32 v2, v17, v38
	;; [unrolled: 1-line block ×3, first 2 shown]
	v_fma_f32 v33, -0.5, v48, v33
	v_fmac_f32_e32 v34, -0.5, v52
	v_fmamk_f32 v11, v16, 0x3f5db3d7, v3
	v_fmamk_f32 v12, v19, 0xbf5db3d7, v4
	v_fmac_f32_e32 v3, 0xbf5db3d7, v16
	v_fmac_f32_e32 v4, 0x3f5db3d7, v19
	v_add_f32_e32 v7, v20, v13
	v_add_f32_e32 v8, v26, v47
	v_fmamk_f32 v13, v22, 0x3f5db3d7, v23
	v_fmamk_f32 v14, v37, 0xbf5db3d7, v24
	v_fmac_f32_e32 v23, 0xbf5db3d7, v22
	v_fmac_f32_e32 v24, 0x3f5db3d7, v37
	v_add_f32_e32 v9, v10, v15
	v_add_f32_e32 v10, v36, v51
	v_fmamk_f32 v15, v44, 0x3f5db3d7, v31
	v_fmamk_f32 v16, v46, 0xbf5db3d7, v32
	v_add_f32_e32 v36, v50, v54
	v_fmac_f32_e32 v31, 0xbf5db3d7, v44
	v_fmac_f32_e32 v32, 0x3f5db3d7, v46
	v_fmamk_f32 v37, v49, 0x3f5db3d7, v33
	v_fmac_f32_e32 v33, 0xbf5db3d7, v49
	v_fmamk_f32 v38, v53, 0xbf5db3d7, v34
	v_fmac_f32_e32 v34, 0x3f5db3d7, v53
	ds_write2_b64 v28, v[1:2], v[11:12] offset1:96
	ds_write_b64 v28, v[3:4] offset:1536
	ds_write2_b64 v41, v[7:8], v[13:14] offset1:96
	ds_write_b64 v41, v[23:24] offset:1536
	ds_write2_b64 v42, v[9:10], v[15:16] offset1:96
	ds_write_b64 v42, v[31:32] offset:1536
	ds_write2_b64 v43, v[35:36], v[37:38] offset1:96
	ds_write_b64 v43, v[33:34] offset:1536
	s_waitcnt lgkmcnt(0)
	s_barrier
	buffer_gl0_inv
	ds_read2st64_b64 v[1:4], v40 offset0:4 offset1:13
	ds_read_b64 v[47:48], v5
	ds_read_b64 v[55:56], v5 offset:9216
	ds_read_b64 v[53:54], v5 offset:11520
	ds_read_b64 v[51:52], v5 offset:13824
	ds_read_b64 v[57:58], v39
	ds_read_b64 v[49:50], v5 offset:16128
                                        ; implicit-def: $vgpr44
                                        ; implicit-def: $vgpr46
                                        ; implicit-def: $vgpr40
                                        ; implicit-def: $vgpr42
	s_and_saveexec_b32 s17, s0
	s_cbranch_execz .LBB0_16
; %bb.15:
	ds_read_b64 v[35:36], v5 offset:3840
	ds_read_b64 v[37:38], v5 offset:6144
	;; [unrolled: 1-line block ×6, first 2 shown]
	ds_read_b64 v[31:32], v6
	ds_read_b64 v[41:42], v5 offset:17664
.LBB0_16:
	s_or_b32 exec_lo, exec_lo, s17
	v_mul_lo_u16 v0, v99, 22
	s_load_dwordx2 s[4:5], s[4:5], 0x8
	s_andn2_b32 vcc_lo, exec_lo, s1
	v_lshrrev_b16 v0, 8, v0
	v_mul_lo_u16 v0, v0, 12
	v_sub_nc_u16 v0, v99, v0
	v_and_b32_e32 v103, 0xff, v0
	v_mul_lo_u32 v17, v29, v103
	v_add_nc_u32_e32 v104, 12, v103
	v_mul_u32_u24_e32 v0, 7, v103
	v_add_nc_u32_e32 v105, 24, v103
	v_add_nc_u32_e32 v106, 36, v103
	v_or_b32_e32 v18, 48, v103
	v_mul_lo_u32 v19, v29, v104
	v_lshlrev_b32_e32 v0, 3, v0
	v_mul_lo_u32 v20, v29, v105
	v_bfe_u32 v21, v17, 8, 8
	s_clause 0x3
	global_load_dwordx4 v[13:16], v0, s[6:7] offset:64
	global_load_dwordx4 v[9:12], v0, s[6:7] offset:80
	;; [unrolled: 1-line block ×3, first 2 shown]
	global_load_dwordx2 v[65:66], v0, s[6:7] offset:112
	v_lshlrev_b32_sdwa v0, v59, v17 dst_sel:DWORD dst_unused:UNUSED_PAD src0_sel:DWORD src1_sel:BYTE_0
	v_lshl_or_b32 v21, v21, 3, 0x800
	v_bfe_u32 v23, v19, 8, 8
	v_mul_lo_u32 v22, v29, v106
	v_mul_lo_u32 v18, v29, v18
	v_bfe_u32 v24, v20, 8, 8
	s_waitcnt lgkmcnt(0)
	s_clause 0x1
	global_load_dwordx2 v[61:62], v0, s[4:5]
	global_load_dwordx2 v[63:64], v21, s[4:5]
	v_lshlrev_b32_sdwa v0, v59, v19 dst_sel:DWORD dst_unused:UNUSED_PAD src0_sel:DWORD src1_sel:BYTE_0
	v_add_nc_u32_e32 v107, 60, v103
	v_lshl_or_b32 v21, v23, 3, 0x800
	v_add_nc_u32_e32 v108, 0x48, v103
	v_lshlrev_b32_sdwa v26, v59, v20 dst_sel:DWORD dst_unused:UNUSED_PAD src0_sel:DWORD src1_sel:BYTE_0
	v_lshl_or_b32 v24, v24, 3, 0x800
	s_clause 0x1
	global_load_dwordx2 v[67:68], v0, s[4:5]
	global_load_dwordx2 v[87:88], v21, s[4:5]
	v_bfe_u32 v0, v22, 8, 8
	v_mul_lo_u32 v23, v29, v107
	v_bfe_u32 v21, v18, 8, 8
	s_clause 0x1
	global_load_dwordx2 v[83:84], v26, s[4:5]
	global_load_dwordx2 v[85:86], v24, s[4:5]
	v_mul_lo_u32 v26, v29, v108
	v_lshlrev_b32_sdwa v24, v59, v22 dst_sel:DWORD dst_unused:UNUSED_PAD src0_sel:DWORD src1_sel:BYTE_0
	v_lshl_or_b32 v0, v0, 3, 0x800
	v_lshlrev_b32_sdwa v27, v59, v18 dst_sel:DWORD dst_unused:UNUSED_PAD src0_sel:DWORD src1_sel:BYTE_0
	v_lshl_or_b32 v21, v21, 3, 0x800
	s_clause 0x1
	global_load_dwordx2 v[89:90], v24, s[4:5]
	global_load_dwordx2 v[93:94], v0, s[4:5]
	v_bfe_u32 v0, v23, 8, 8
	s_clause 0x1
	global_load_dwordx2 v[91:92], v27, s[4:5]
	global_load_dwordx2 v[95:96], v21, s[4:5]
	v_lshlrev_b32_sdwa v21, v59, v23 dst_sel:DWORD dst_unused:UNUSED_PAD src0_sel:DWORD src1_sel:BYTE_0
	v_bfe_u32 v24, v26, 8, 8
	v_lshlrev_b32_sdwa v27, v59, v26 dst_sel:DWORD dst_unused:UNUSED_PAD src0_sel:DWORD src1_sel:BYTE_0
	v_lshl_or_b32 v0, v0, 3, 0x800
	v_add_nc_u32_e32 v109, 0x54, v103
	global_load_dwordx2 v[97:98], v21, s[4:5]
	v_lshl_or_b32 v21, v24, 3, 0x800
	s_clause 0x2
	global_load_dwordx2 v[110:111], v0, s[4:5]
	global_load_dwordx2 v[112:113], v27, s[4:5]
	;; [unrolled: 1-line block ×3, first 2 shown]
	v_and_b32_e32 v0, 0xff, v25
	v_mul_lo_u32 v21, v29, v109
	v_bfe_u32 v17, v17, 16, 8
	v_bfe_u32 v78, v18, 16, 8
	;; [unrolled: 1-line block ×3, first 2 shown]
	v_mul_lo_u16 v0, 0xab, v0
	v_bfe_u32 v77, v22, 16, 8
	v_lshl_or_b32 v76, v17, 3, 0x1000
	v_bfe_u32 v79, v23, 16, 8
	v_bfe_u32 v80, v21, 8, 8
	v_lshrrev_b16 v0, 11, v0
	v_lshlrev_b32_sdwa v118, v59, v21 dst_sel:DWORD dst_unused:UNUSED_PAD src0_sel:DWORD src1_sel:BYTE_0
	v_bfe_u32 v119, v21, 16, 8
	v_bfe_u32 v120, v20, 16, 8
	;; [unrolled: 1-line block ×3, first 2 shown]
	v_mul_lo_u16 v0, v0, 12
	v_lshl_or_b32 v134, v121, 3, 0x1000
	v_sub_nc_u16 v0, v25, v0
	v_and_b32_e32 v0, 0xff, v0
	v_mul_u32_u24_e32 v24, 7, v0
	v_mul_lo_u32 v25, v29, v0
	v_add_nc_u32_e32 v27, 12, v0
	v_add_nc_u32_e32 v28, 24, v0
	;; [unrolled: 1-line block ×3, first 2 shown]
	v_lshlrev_b32_e32 v72, 3, v24
	v_or_b32_e32 v69, 48, v0
	v_add_nc_u32_e32 v70, 60, v0
	v_add_nc_u32_e32 v71, 0x48, v0
	;; [unrolled: 1-line block ×3, first 2 shown]
	v_mul_lo_u32 v73, v29, v27
	v_mul_lo_u32 v74, v29, v28
	v_lshlrev_b32_sdwa v136, v59, v25 dst_sel:DWORD dst_unused:UNUSED_PAD src0_sel:DWORD src1_sel:BYTE_0
	v_bfe_u32 v122, v25, 8, 8
	v_bfe_u32 v123, v25, 16, 8
	s_clause 0x3
	global_load_dwordx2 v[81:82], v72, s[6:7] offset:112
	global_load_dwordx4 v[17:20], v72, s[6:7] offset:96
	global_load_dwordx4 v[21:24], v72, s[6:7] offset:80
	;; [unrolled: 1-line block ×3, first 2 shown]
	global_load_dwordx2 v[116:117], v76, s[4:5]
	v_lshl_or_b32 v76, v78, 3, 0x1000
	v_lshl_or_b32 v78, v80, 3, 0x800
	v_mul_lo_u32 v60, v29, v60
	v_mul_lo_u32 v69, v29, v69
	;; [unrolled: 1-line block ×5, first 2 shown]
	v_lshl_or_b32 v72, v75, 3, 0x1000
	v_lshl_or_b32 v75, v77, 3, 0x1000
	;; [unrolled: 1-line block ×5, first 2 shown]
	s_clause 0x1
	global_load_dwordx2 v[118:119], v118, s[4:5]
	global_load_dwordx2 v[120:121], v78, s[4:5]
	v_lshlrev_b32_sdwa v139, v59, v73 dst_sel:DWORD dst_unused:UNUSED_PAD src0_sel:DWORD src1_sel:BYTE_0
	v_lshlrev_b32_sdwa v141, v59, v74 dst_sel:DWORD dst_unused:UNUSED_PAD src0_sel:DWORD src1_sel:BYTE_0
	;; [unrolled: 1-line block ×3, first 2 shown]
	v_bfe_u32 v144, v60, 8, 8
	v_bfe_u32 v145, v60, 16, 8
	v_lshlrev_b32_sdwa v146, v59, v69 dst_sel:DWORD dst_unused:UNUSED_PAD src0_sel:DWORD src1_sel:BYTE_0
	v_lshlrev_b32_sdwa v148, v59, v70 dst_sel:DWORD dst_unused:UNUSED_PAD src0_sel:DWORD src1_sel:BYTE_0
	;; [unrolled: 1-line block ×4, first 2 shown]
	v_lshl_or_b32 v137, v122, 3, 0x800
	v_lshl_or_b32 v138, v123, 3, 0x1000
	s_clause 0x1
	global_load_dwordx2 v[122:123], v72, s[4:5]
	global_load_dwordx2 v[124:125], v75, s[4:5]
	v_bfe_u32 v151, v71, 8, 8
	v_bfe_u32 v152, v71, 16, 8
	s_clause 0x4
	global_load_dwordx2 v[126:127], v76, s[4:5]
	global_load_dwordx2 v[128:129], v80, s[4:5]
	;; [unrolled: 1-line block ×5, first 2 shown]
	v_bfe_u32 v140, v73, 8, 8
	v_bfe_u32 v73, v73, 16, 8
	;; [unrolled: 1-line block ×10, first 2 shown]
	v_lshl_or_b32 v0, v0, 3, 0x1000
	s_waitcnt vmcnt(31)
	v_mul_f32_e32 v59, v16, v58
	v_mul_f32_e32 v60, v14, v2
	;; [unrolled: 1-line block ×3, first 2 shown]
	s_waitcnt vmcnt(30)
	v_mul_f32_e32 v14, v10, v4
	v_mul_f32_e32 v158, v10, v3
	v_fma_f32 v156, v15, v57, -v59
	v_fma_f32 v157, v13, v1, -v60
	s_clause 0x3
	global_load_dwordx2 v[77:78], v136, s[4:5]
	global_load_dwordx2 v[79:80], v137, s[4:5]
	;; [unrolled: 1-line block ×4, first 2 shown]
	s_waitcnt vmcnt(33)
	v_mul_f32_e32 v10, v6, v54
	v_mul_f32_e32 v136, v6, v53
	;; [unrolled: 1-line block ×3, first 2 shown]
	v_fmac_f32_e32 v155, v13, v2
	v_lshl_or_b32 v2, v73, 3, 0x1000
	v_fma_f32 v137, v5, v53, -v10
	v_fmac_f32_e32 v136, v5, v54
	v_mul_f32_e32 v5, v8, v52
	v_fma_f32 v161, v11, v55, -v1
	v_lshl_or_b32 v1, v140, 3, 0x800
	s_waitcnt vmcnt(32)
	v_mul_f32_e32 v140, v66, v49
	v_fma_f32 v159, v9, v3, -v14
	v_fma_f32 v139, v7, v51, -v5
	v_mul_f32_e32 v5, v66, v50
	v_lshl_or_b32 v3, v142, 3, 0x800
	v_fmac_f32_e32 v158, v9, v4
	v_mul_f32_e32 v160, v12, v55
	v_lshl_or_b32 v4, v74, 3, 0x1000
	v_lshl_or_b32 v9, v144, 3, 0x800
	;; [unrolled: 1-line block ×4, first 2 shown]
	v_fma_f32 v144, v65, v49, -v5
	v_fmac_f32_e32 v140, v65, v50
	s_clause 0x3
	global_load_dwordx2 v[75:76], v1, s[4:5]
	global_load_dwordx2 v[65:66], v2, s[4:5]
	global_load_dwordx2 v[69:70], v141, s[4:5]
	global_load_dwordx2 v[73:74], v3, s[4:5]
	s_waitcnt vmcnt(32)
	v_mul_f32_e32 v1, v68, v88
	v_mul_f32_e32 v88, v67, v88
	s_waitcnt vmcnt(30)
	v_mul_f32_e32 v2, v84, v86
	v_fmac_f32_e32 v160, v11, v56
	v_lshl_or_b32 v11, v147, 3, 0x800
	v_mul_f32_e32 v138, v8, v51
	v_mul_f32_e32 v86, v83, v86
	v_fma_f32 v147, v67, v87, -v1
	v_fmac_f32_e32 v88, v68, v87
	s_waitcnt vmcnt(28)
	v_mul_f32_e32 v1, v90, v94
	v_mul_f32_e32 v87, v89, v94
	v_fma_f32 v83, v83, v85, -v2
	s_waitcnt vmcnt(26)
	v_mul_f32_e32 v2, v92, v96
	v_mul_f32_e32 v16, v16, v57
	v_lshl_or_b32 v6, v145, 3, 0x1000
	v_lshl_or_b32 v8, v149, 3, 0x800
	v_fmac_f32_e32 v138, v7, v52
	v_lshl_or_b32 v7, v152, 3, 0x1000
	v_mul_f32_e32 v5, v62, v64
	v_mul_f32_e32 v145, v61, v64
	v_fmac_f32_e32 v86, v84, v85
	v_mul_f32_e32 v84, v91, v96
	v_fma_f32 v85, v89, v93, -v1
	v_fmac_f32_e32 v87, v90, v93
	s_waitcnt vmcnt(24)
	v_mul_f32_e32 v1, v98, v111
	v_fma_f32 v90, v91, v95, -v2
	s_waitcnt vmcnt(22)
	v_mul_f32_e32 v2, v113, v115
	v_lshl_or_b32 v142, v154, 3, 0x800
	v_lshl_or_b32 v13, v151, 3, 0x800
	v_fmac_f32_e32 v16, v15, v58
	v_fma_f32 v141, v61, v63, -v5
	v_fmac_f32_e32 v145, v62, v63
	s_clause 0x7
	global_load_dwordx2 v[67:68], v4, s[4:5]
	global_load_dwordx2 v[55:56], v143, s[4:5]
	;; [unrolled: 1-line block ×8, first 2 shown]
	v_fmac_f32_e32 v84, v92, v95
	v_fma_f32 v92, v97, v110, -v1
	s_clause 0x3
	global_load_dwordx2 v[53:54], v8, s[4:5]
	global_load_dwordx2 v[8:9], v10, s[4:5]
	;; [unrolled: 1-line block ×4, first 2 shown]
	v_fma_f32 v93, v112, v114, -v2
	s_clause 0x3
	global_load_dwordx2 v[6:7], v7, s[4:5]
	global_load_dwordx2 v[2:3], v153, s[4:5]
	global_load_dwordx2 v[4:5], v142, s[4:5]
	global_load_dwordx2 v[0:1], v0, s[4:5]
	v_mul_f32_e32 v89, v97, v111
	v_mul_f32_e32 v91, v112, v115
	v_sub_f32_e32 v94, v47, v161
	v_sub_f32_e32 v97, v16, v138
	;; [unrolled: 1-line block ×3, first 2 shown]
	v_fmac_f32_e32 v89, v98, v110
	v_fmac_f32_e32 v91, v113, v114
	v_sub_f32_e32 v98, v157, v137
	v_sub_f32_e32 v110, v155, v136
	v_sub_f32_e32 v112, v158, v140
	v_sub_f32_e32 v95, v48, v160
	v_sub_f32_e32 v96, v156, v139
	v_fma_f32 v16, v16, 2.0, -v97
	v_fma_f32 v137, v159, 2.0, -v111
	;; [unrolled: 1-line block ×3, first 2 shown]
	v_sub_f32_e32 v97, v94, v97
	v_sub_f32_e32 v112, v98, v112
	v_add_f32_e32 v111, v110, v111
	v_fma_f32 v47, v47, 2.0, -v94
	v_fma_f32 v48, v48, 2.0, -v95
	;; [unrolled: 1-line block ×4, first 2 shown]
	v_add_f32_e32 v96, v95, v96
	v_fma_f32 v139, v94, 2.0, -v97
	v_fma_f32 v94, v98, 2.0, -v112
	v_sub_f32_e32 v115, v47, v115
	v_sub_f32_e32 v16, v48, v16
	v_fma_f32 v95, v95, 2.0, -v96
	s_waitcnt vmcnt(31)
	v_mul_f32_e32 v113, v119, v121
	v_mul_f32_e32 v114, v118, v121
	v_fma_f32 v121, v157, 2.0, -v98
	v_fma_f32 v98, v110, 2.0, -v111
	;; [unrolled: 1-line block ×3, first 2 shown]
	v_fma_f32 v113, v118, v120, -v113
	v_mul_f32_e32 v118, v145, v117
	v_mul_f32_e32 v117, v141, v117
	v_fmac_f32_e32 v114, v119, v120
	v_sub_f32_e32 v119, v121, v137
	v_sub_f32_e32 v120, v136, v138
	v_fma_f32 v110, v116, v141, -v118
	v_fmac_f32_e32 v117, v116, v145
	s_waitcnt vmcnt(30)
	v_mul_f32_e32 v116, v147, v123
	v_fmamk_f32 v137, v111, 0x3f3504f3, v96
	v_fmamk_f32 v138, v112, 0x3f3504f3, v97
	v_mul_f32_e32 v118, v88, v123
	s_waitcnt vmcnt(27)
	v_mul_f32_e32 v123, v86, v129
	v_mul_f32_e32 v129, v83, v129
	;; [unrolled: 1-line block ×3, first 2 shown]
	v_fmac_f32_e32 v116, v122, v88
	v_mul_f32_e32 v88, v85, v125
	v_fma_f32 v118, v122, v147, -v118
	v_mul_f32_e32 v122, v84, v127
	v_mul_f32_e32 v125, v90, v127
	v_fma_f32 v123, v128, v83, -v123
	s_waitcnt vmcnt(26)
	v_mul_f32_e32 v83, v89, v131
	v_fmac_f32_e32 v129, v128, v86
	v_mul_f32_e32 v127, v92, v131
	s_waitcnt vmcnt(24)
	v_mul_f32_e32 v86, v91, v135
	v_mul_f32_e32 v128, v93, v135
	v_fmac_f32_e32 v137, 0x3f3504f3, v112
	v_mul_f32_e32 v112, v114, v133
	v_fmac_f32_e32 v138, 0xbf3504f3, v111
	v_mul_f32_e32 v111, v113, v133
	v_fma_f32 v121, v121, 2.0, -v119
	v_add_f32_e32 v119, v16, v119
	v_fma_f32 v131, v136, 2.0, -v120
	v_sub_f32_e32 v120, v115, v120
	v_fma_f32 v47, v47, 2.0, -v115
	v_fma_f32 v133, v124, v85, -v140
	v_fmamk_f32 v135, v94, 0xbf3504f3, v139
	v_fmac_f32_e32 v88, v124, v87
	v_fmamk_f32 v124, v98, 0xbf3504f3, v95
	v_fmac_f32_e32 v127, v130, v89
	v_fmac_f32_e32 v128, v134, v91
	v_fma_f32 v89, v132, v113, -v112
	v_fmac_f32_e32 v111, v132, v114
	v_fma_f32 v16, v16, 2.0, -v119
	v_fma_f32 v91, v115, 2.0, -v120
	;; [unrolled: 1-line block ×4, first 2 shown]
	v_sub_f32_e32 v112, v48, v131
	v_sub_f32_e32 v113, v47, v121
	v_fmac_f32_e32 v135, 0xbf3504f3, v98
	v_fmac_f32_e32 v124, 0x3f3504f3, v94
	v_fma_f32 v87, v126, v90, -v122
	v_fmac_f32_e32 v125, v126, v84
	v_fma_f32 v122, v130, v92, -v83
	v_fma_f32 v83, v134, v93, -v86
	v_mul_f32_e32 v85, v119, v128
	v_mul_f32_e32 v86, v120, v128
	v_mul_f32_e32 v93, v137, v111
	v_mul_f32_e32 v84, v138, v111
	v_mul_f32_e32 v98, v16, v129
	v_mul_f32_e32 v94, v91, v129
	v_mul_f32_e32 v111, v96, v88
	v_mul_f32_e32 v92, v97, v88
	v_fma_f32 v48, v48, 2.0, -v112
	v_fma_f32 v47, v47, 2.0, -v113
	;; [unrolled: 1-line block ×4, first 2 shown]
	v_mul_f32_e32 v114, v112, v125
	v_mul_f32_e32 v90, v113, v125
	;; [unrolled: 1-line block ×4, first 2 shown]
	v_fma_f32 v85, v120, v83, -v85
	v_fmac_f32_e32 v86, v119, v83
	v_fma_f32 v83, v138, v89, -v93
	v_fma_f32 v93, v91, v123, -v98
	v_fmac_f32_e32 v94, v16, v123
	v_fma_f32 v91, v97, v133, -v111
	v_fmac_f32_e32 v92, v96, v133
	v_mul_f32_e32 v16, v48, v117
	v_mul_f32_e32 v98, v47, v117
	;; [unrolled: 1-line block ×4, first 2 shown]
	v_fmac_f32_e32 v84, v137, v89
	v_fma_f32 v89, v113, v87, -v114
	v_fmac_f32_e32 v90, v112, v87
	v_fma_f32 v87, v135, v122, -v115
	;; [unrolled: 2-line block ×4, first 2 shown]
	v_fmac_f32_e32 v96, v121, v118
	s_cbranch_vccnz .LBB0_18
; %bb.17:
	v_mad_u64_u32 v[47:48], null, s12, v102, 0
	v_mad_u64_u32 v[110:111], null, s8, v103, 0
	v_mad_u64_u32 v[112:113], null, s8, v104, 0
	s_lshl_b64 s[4:5], s[2:3], 3
	s_add_u32 s1, s14, s4
	v_mov_b32_e32 v16, v48
	v_mov_b32_e32 v48, v111
	s_addc_u32 s4, s15, s5
	s_and_b32 s16, s0, exec_lo
	v_mad_u64_u32 v[114:115], null, s13, v102, v[16:17]
	v_mov_b32_e32 v16, v113
	s_waitcnt vmcnt(9)
	v_mad_u64_u32 v[115:116], null, s9, v103, v[48:49]
	v_mad_u64_u32 v[116:117], null, s8, v105, 0
	;; [unrolled: 1-line block ×3, first 2 shown]
	v_mov_b32_e32 v48, v114
	v_mov_b32_e32 v111, v115
	v_mad_u64_u32 v[114:115], null, s8, v106, 0
	v_lshlrev_b64 v[47:48], 3, v[47:48]
	v_mov_b32_e32 v16, v117
	v_mov_b32_e32 v113, v118
	v_lshlrev_b64 v[110:111], 3, v[110:111]
	v_add_co_u32 v47, vcc_lo, s1, v47
	v_mad_u64_u32 v[117:118], null, s9, v105, v[16:17]
	v_add_co_ci_u32_e32 v48, vcc_lo, s4, v48, vcc_lo
	v_lshlrev_b64 v[112:113], 3, v[112:113]
	v_mov_b32_e32 v16, v115
	v_add_co_u32 v110, vcc_lo, v47, v110
	v_add_co_ci_u32_e32 v111, vcc_lo, v48, v111, vcc_lo
	v_mad_u64_u32 v[118:119], null, s9, v106, v[16:17]
	v_add_co_u32 v112, vcc_lo, v47, v112
	v_add_co_ci_u32_e32 v113, vcc_lo, v48, v113, vcc_lo
	v_add_nc_u32_e32 v119, 48, v103
	global_store_dwordx2 v[110:111], v[97:98], off
	v_lshlrev_b64 v[110:111], 3, v[116:117]
	global_store_dwordx2 v[112:113], v[95:96], off
	v_mov_b32_e32 v115, v118
	v_mad_u64_u32 v[112:113], null, s8, v119, 0
	v_mad_u64_u32 v[116:117], null, s8, v107, 0
	v_add_co_u32 v110, vcc_lo, v47, v110
	v_lshlrev_b64 v[114:115], 3, v[114:115]
	v_add_co_ci_u32_e32 v111, vcc_lo, v48, v111, vcc_lo
	v_mov_b32_e32 v16, v113
	v_mov_b32_e32 v113, v117
	global_store_dwordx2 v[110:111], v[93:94], off
	v_add_co_u32 v110, vcc_lo, v47, v114
	v_add_co_ci_u32_e32 v111, vcc_lo, v48, v115, vcc_lo
	v_mad_u64_u32 v[114:115], null, s9, v119, v[16:17]
	v_mad_u64_u32 v[118:119], null, s8, v108, 0
	global_store_dwordx2 v[110:111], v[91:92], off
	v_mad_u64_u32 v[120:121], null, s9, v107, v[113:114]
	v_mad_u64_u32 v[121:122], null, s8, v109, 0
	v_mov_b32_e32 v113, v114
	v_mov_b32_e32 v16, v119
	;; [unrolled: 1-line block ×3, first 2 shown]
	v_lshlrev_b64 v[110:111], 3, v[112:113]
	v_mad_u64_u32 v[113:114], null, s9, v108, v[16:17]
	v_mov_b32_e32 v112, v122
	v_lshlrev_b64 v[114:115], 3, v[116:117]
	v_add_co_u32 v110, vcc_lo, v47, v110
	v_add_co_ci_u32_e32 v111, vcc_lo, v48, v111, vcc_lo
	v_mad_u64_u32 v[116:117], null, s9, v109, v[112:113]
	v_mov_b32_e32 v119, v113
	v_add_co_u32 v112, vcc_lo, v47, v114
	v_add_co_ci_u32_e32 v113, vcc_lo, v48, v115, vcc_lo
	global_store_dwordx2 v[110:111], v[89:90], off
	v_mov_b32_e32 v122, v116
	v_lshlrev_b64 v[110:111], 3, v[118:119]
	global_store_dwordx2 v[112:113], v[87:88], off
	v_lshlrev_b64 v[112:113], 3, v[121:122]
	v_add_co_u32 v110, vcc_lo, v47, v110
	v_add_co_ci_u32_e32 v111, vcc_lo, v48, v111, vcc_lo
	v_add_co_u32 v112, vcc_lo, v47, v112
	v_add_co_ci_u32_e32 v113, vcc_lo, v48, v113, vcc_lo
	global_store_dwordx2 v[110:111], v[85:86], off
	global_store_dwordx2 v[112:113], v[83:84], off
	s_cbranch_execz .LBB0_19
	s_branch .LBB0_22
.LBB0_18:
                                        ; implicit-def: $vgpr47_vgpr48
.LBB0_19:
	s_mov_b32 s1, exec_lo
                                        ; implicit-def: $vgpr47_vgpr48
	v_cmpx_gt_u64_e64 s[10:11], v[29:30]
	s_cbranch_execz .LBB0_21
; %bb.20:
	v_mad_u64_u32 v[29:30], null, s12, v102, 0
	v_mad_u64_u32 v[47:48], null, s8, v103, 0
	;; [unrolled: 1-line block ×3, first 2 shown]
	s_lshl_b64 s[2:3], s[2:3], 3
	s_add_u32 s2, s14, s2
	v_mov_b32_e32 v16, v30
	v_mov_b32_e32 v30, v48
	s_addc_u32 s3, s15, s3
	s_and_b32 s0, s0, exec_lo
	v_mad_u64_u32 v[112:113], null, s13, v102, v[16:17]
	v_mov_b32_e32 v16, v111
	v_mad_u64_u32 v[113:114], null, s9, v103, v[30:31]
	v_mad_u64_u32 v[114:115], null, s8, v105, 0
	;; [unrolled: 1-line block ×3, first 2 shown]
	v_mov_b32_e32 v30, v112
	v_mov_b32_e32 v48, v113
	;; [unrolled: 1-line block ×3, first 2 shown]
	v_lshlrev_b64 v[29:30], 3, v[29:30]
	v_mov_b32_e32 v111, v116
	v_mad_u64_u32 v[116:117], null, s8, v106, 0
	v_lshlrev_b64 v[112:113], 3, v[47:48]
	v_mad_u64_u32 v[104:105], null, s9, v105, v[16:17]
	v_add_co_u32 v47, vcc_lo, s2, v29
	v_add_co_ci_u32_e32 v48, vcc_lo, s3, v30, vcc_lo
	v_lshlrev_b64 v[29:30], 3, v[110:111]
	v_mov_b32_e32 v16, v117
	v_add_co_u32 v110, vcc_lo, v47, v112
	v_add_co_ci_u32_e32 v111, vcc_lo, v48, v113, vcc_lo
	v_add_co_u32 v29, vcc_lo, v47, v29
	v_mov_b32_e32 v115, v104
	v_mad_u64_u32 v[104:105], null, s9, v106, v[16:17]
	v_add_co_ci_u32_e32 v30, vcc_lo, v48, v30, vcc_lo
	v_add_nc_u32_e32 v105, 48, v103
	global_store_dwordx2 v[110:111], v[97:98], off
	v_lshlrev_b64 v[97:98], 3, v[114:115]
	global_store_dwordx2 v[29:30], v[95:96], off
	v_mov_b32_e32 v117, v104
	v_mad_u64_u32 v[29:30], null, s8, v105, 0
	v_mad_u64_u32 v[102:103], null, s8, v107, 0
	v_add_co_u32 v95, vcc_lo, v47, v97
	v_add_co_ci_u32_e32 v96, vcc_lo, v48, v98, vcc_lo
	v_lshlrev_b64 v[97:98], 3, v[116:117]
	v_mov_b32_e32 v16, v30
	v_mov_b32_e32 v30, v103
	global_store_dwordx2 v[95:96], v[93:94], off
	s_andn2_b32 s2, s16, exec_lo
	v_mad_u64_u32 v[95:96], null, s9, v105, v[16:17]
	v_add_co_u32 v93, vcc_lo, v47, v97
	v_mad_u64_u32 v[96:97], null, s8, v108, 0
	v_mad_u64_u32 v[103:104], null, s9, v107, v[30:31]
	v_add_co_ci_u32_e32 v94, vcc_lo, v48, v98, vcc_lo
	v_mad_u64_u32 v[104:105], null, s8, v109, 0
	v_mov_b32_e32 v16, v97
	v_mov_b32_e32 v30, v95
	global_store_dwordx2 v[93:94], v[91:92], off
	s_or_b32 s16, s2, s0
	v_mad_u64_u32 v[92:93], null, s9, v108, v[16:17]
	v_mov_b32_e32 v91, v105
	v_lshlrev_b64 v[29:30], 3, v[29:30]
	v_lshlrev_b64 v[93:94], 3, v[102:103]
	v_mad_u64_u32 v[102:103], null, s9, v109, v[91:92]
	v_add_co_u32 v29, vcc_lo, v47, v29
	v_add_co_ci_u32_e32 v30, vcc_lo, v48, v30, vcc_lo
	v_mov_b32_e32 v97, v92
	v_add_co_u32 v91, vcc_lo, v47, v93
	v_add_co_ci_u32_e32 v92, vcc_lo, v48, v94, vcc_lo
	v_mov_b32_e32 v105, v102
	global_store_dwordx2 v[29:30], v[89:90], off
	v_lshlrev_b64 v[29:30], 3, v[96:97]
	global_store_dwordx2 v[91:92], v[87:88], off
	v_lshlrev_b64 v[87:88], 3, v[104:105]
	v_add_co_u32 v29, vcc_lo, v47, v29
	v_add_co_ci_u32_e32 v30, vcc_lo, v48, v30, vcc_lo
	v_add_co_u32 v87, vcc_lo, v47, v87
	v_add_co_ci_u32_e32 v88, vcc_lo, v48, v88, vcc_lo
	global_store_dwordx2 v[29:30], v[85:86], off
	global_store_dwordx2 v[87:88], v[83:84], off
.LBB0_21:
	s_or_b32 exec_lo, exec_lo, s1
.LBB0_22:
	s_and_saveexec_b32 s0, s16
	s_cbranch_execnz .LBB0_24
; %bb.23:
	s_endpgm
.LBB0_24:
	v_mul_f32_e32 v16, v36, v26
	v_mul_f32_e32 v26, v35, v26
	;; [unrolled: 1-line block ×5, first 2 shown]
	v_fma_f32 v16, v35, v25, -v16
	v_fmac_f32_e32 v26, v36, v25
	v_fma_f32 v25, v37, v27, -v29
	v_fmac_f32_e32 v28, v38, v27
	v_mul_f32_e32 v22, v33, v22
	v_fma_f32 v27, v33, v21, -v30
	v_mul_f32_e32 v29, v44, v24
	v_mul_f32_e32 v24, v43, v24
	;; [unrolled: 1-line block ×4, first 2 shown]
	v_fmac_f32_e32 v22, v34, v21
	v_fma_f32 v21, v43, v23, -v29
	v_fmac_f32_e32 v24, v44, v23
	v_fma_f32 v23, v45, v17, -v30
	v_mul_f32_e32 v29, v40, v20
	v_fmac_f32_e32 v18, v46, v17
	v_mul_f32_e32 v17, v39, v20
	v_mul_f32_e32 v20, v42, v82
	;; [unrolled: 1-line block ×3, first 2 shown]
	v_fma_f32 v29, v39, v19, -v29
	v_sub_f32_e32 v21, v31, v21
	v_fmac_f32_e32 v17, v40, v19
	v_fma_f32 v19, v41, v81, -v20
	v_fmac_f32_e32 v30, v42, v81
	v_sub_f32_e32 v29, v25, v29
	v_sub_f32_e32 v23, v16, v23
	;; [unrolled: 1-line block ×4, first 2 shown]
	v_fma_f32 v24, v31, 2.0, -v21
	v_sub_f32_e32 v17, v28, v17
	v_sub_f32_e32 v18, v26, v18
	v_fma_f32 v25, v25, 2.0, -v29
	v_fma_f32 v16, v16, 2.0, -v23
	v_sub_f32_e32 v30, v22, v30
	v_fma_f32 v27, v27, 2.0, -v19
	v_fma_f32 v31, v32, 2.0, -v20
	;; [unrolled: 1-line block ×4, first 2 shown]
	v_sub_f32_e32 v25, v24, v25
	v_sub_f32_e32 v17, v21, v17
	v_fma_f32 v22, v22, 2.0, -v30
	v_sub_f32_e32 v30, v23, v30
	v_sub_f32_e32 v27, v16, v27
	;; [unrolled: 1-line block ×3, first 2 shown]
	v_fma_f32 v24, v24, 2.0, -v25
	v_add_f32_e32 v29, v20, v29
	v_fma_f32 v21, v21, 2.0, -v17
	v_add_f32_e32 v19, v18, v19
	v_sub_f32_e32 v22, v26, v22
	v_fma_f32 v23, v23, 2.0, -v30
	v_fma_f32 v16, v16, 2.0, -v27
	;; [unrolled: 1-line block ×6, first 2 shown]
	v_fmamk_f32 v32, v23, 0xbf3504f3, v21
	v_sub_f32_e32 v34, v24, v16
	s_waitcnt vmcnt(22)
	v_mul_f32_e32 v16, v78, v80
	v_fmamk_f32 v33, v18, 0xbf3504f3, v20
	v_sub_f32_e32 v26, v31, v26
	v_fmac_f32_e32 v32, 0xbf3504f3, v18
	v_fma_f32 v18, v24, 2.0, -v34
	v_mul_f32_e32 v24, v77, v80
	v_fmac_f32_e32 v33, 0x3f3504f3, v23
	v_fma_f32 v23, v31, 2.0, -v26
	v_sub_f32_e32 v31, v25, v22
	v_fma_f32 v16, v77, v79, -v16
	v_fmamk_f32 v35, v30, 0x3f3504f3, v17
	v_fmac_f32_e32 v24, v78, v79
	v_fmamk_f32 v36, v19, 0x3f3504f3, v29
	v_fma_f32 v22, v25, 2.0, -v31
	s_waitcnt vmcnt(21)
	v_mul_f32_e32 v25, v16, v72
	v_fmac_f32_e32 v35, 0xbf3504f3, v19
	v_mul_f32_e32 v19, v24, v72
	v_fmac_f32_e32 v36, 0x3f3504f3, v30
	s_waitcnt vmcnt(19)
	v_mul_f32_e32 v30, v59, v76
	v_fmac_f32_e32 v25, v71, v24
	v_fma_f32 v24, v17, 2.0, -v35
	v_fma_f32 v19, v71, v16, -v19
	v_mul_f32_e32 v16, v60, v76
	s_waitcnt vmcnt(16)
	v_mul_f32_e32 v37, v70, v74
	v_mul_f32_e32 v17, v23, v25
	;; [unrolled: 1-line block ×3, first 2 shown]
	v_fmac_f32_e32 v30, v60, v75
	v_fma_f32 v38, v59, v75, -v16
	v_fma_f32 v37, v69, v73, -v37
	;; [unrolled: 1-line block ×3, first 2 shown]
	v_mul_f32_e32 v17, v18, v25
	v_fmac_f32_e32 v39, v70, v73
	v_mul_f32_e32 v40, v38, v66
	v_fma_f32 v21, v21, 2.0, -v32
	v_fma_f32 v20, v20, 2.0, -v33
	v_add_f32_e32 v27, v28, v27
	v_mul_f32_e32 v18, v30, v66
	s_waitcnt vmcnt(15)
	v_mul_f32_e32 v25, v37, v68
	v_fmac_f32_e32 v40, v65, v30
	v_fmac_f32_e32 v17, v23, v19
	v_mul_f32_e32 v23, v39, v68
	v_fma_f32 v28, v28, 2.0, -v27
	v_fma_f32 v30, v65, v38, -v18
	v_fmac_f32_e32 v25, v67, v39
	v_mul_f32_e32 v18, v20, v40
	v_mul_f32_e32 v19, v21, v40
	v_fma_f32 v23, v67, v37, -v23
	s_waitcnt vmcnt(13)
	v_mul_f32_e32 v37, v56, v58
	v_mul_f32_e32 v38, v28, v25
	v_fma_f32 v18, v21, v30, -v18
	v_mul_f32_e32 v39, v55, v58
	v_fmac_f32_e32 v19, v20, v30
	v_fma_f32 v30, v55, v57, -v37
	s_waitcnt vmcnt(10)
	v_mul_f32_e32 v37, v62, v64
	v_fma_f32 v20, v22, v23, -v38
	v_fmac_f32_e32 v39, v56, v57
	v_mul_f32_e32 v38, v61, v64
	v_mul_f32_e32 v40, v30, v52
	;; [unrolled: 1-line block ×3, first 2 shown]
	v_fma_f32 v22, v61, v63, -v37
	v_fma_f32 v29, v29, 2.0, -v36
	v_mul_f32_e32 v25, v39, v52
	v_fmac_f32_e32 v38, v62, v63
	v_fmac_f32_e32 v40, v51, v39
	;; [unrolled: 1-line block ×3, first 2 shown]
	s_waitcnt vmcnt(9)
	v_mul_f32_e32 v28, v22, v50
	s_waitcnt vmcnt(7)
	v_mul_f32_e32 v39, v15, v54
	v_fma_f32 v25, v51, v30, -v25
	v_mul_f32_e32 v30, v38, v50
	v_mul_f32_e32 v37, v29, v40
	;; [unrolled: 1-line block ×3, first 2 shown]
	v_fmac_f32_e32 v28, v49, v38
	v_mul_f32_e32 v38, v14, v54
	v_fma_f32 v39, v14, v53, -v39
	v_fma_f32 v30, v49, v22, -v30
	;; [unrolled: 1-line block ×3, first 2 shown]
	v_fmac_f32_e32 v23, v29, v25
	s_waitcnt vmcnt(4)
	v_mul_f32_e32 v25, v11, v13
	v_fmac_f32_e32 v38, v15, v53
	v_mul_f32_e32 v24, v39, v9
	v_mul_f32_e32 v13, v10, v13
	;; [unrolled: 1-line block ×3, first 2 shown]
	v_fma_f32 v10, v10, v12, -v25
	v_mul_f32_e32 v9, v38, v9
	v_fmac_f32_e32 v24, v8, v38
	v_fmac_f32_e32 v13, v11, v12
	v_add_nc_u32_e32 v25, 20, v99
	s_waitcnt vmcnt(3)
	v_mul_f32_e32 v12, v10, v7
	v_fma_f32 v9, v8, v39, -v9
	v_mul_f32_e32 v11, v33, v24
	v_mul_f32_e32 v8, v32, v24
	;; [unrolled: 1-line block ×3, first 2 shown]
	v_fmac_f32_e32 v12, v6, v13
	v_or_b32_e32 v13, 8, v99
	v_fma_f32 v7, v32, v9, -v11
	v_fmac_f32_e32 v8, v33, v9
	v_fma_f32 v11, v6, v10, -v24
	s_waitcnt vmcnt(1)
	v_mul_f32_e32 v24, v2, v5
	v_mul_f32_e32 v9, v3, v5
	v_mad_u64_u32 v[5:6], null, s8, v13, 0
	v_mul_f32_e32 v10, v27, v12
	v_fmac_f32_e32 v24, v3, v4
	v_fma_f32 v4, v2, v4, -v9
	v_mul_f32_e32 v14, v26, v28
	v_fmac_f32_e32 v15, v26, v30
	v_fma_f32 v2, v31, v11, -v10
	v_mul_f32_e32 v3, v31, v12
	s_waitcnt vmcnt(0)
	v_mul_f32_e32 v28, v4, v1
	v_mul_f32_e32 v26, v24, v1
	v_mov_b32_e32 v1, v6
	v_mad_u64_u32 v[9:10], null, s8, v25, 0
	v_fmac_f32_e32 v28, v0, v24
	v_fmac_f32_e32 v3, v27, v11
	v_mad_u64_u32 v[11:12], null, s9, v13, v[1:2]
	v_fma_f32 v13, v0, v4, -v26
	v_mad_u64_u32 v[0:1], null, s8, v101, 0
	v_mov_b32_e32 v4, v10
	v_mul_f32_e32 v24, v36, v28
	v_mul_f32_e32 v12, v35, v28
	v_mov_b32_e32 v6, v11
	v_or_b32_e32 v26, 56, v99
	v_mad_u64_u32 v[10:11], null, s9, v25, v[4:5]
	v_fma_f32 v11, v35, v13, -v24
	v_mad_u64_u32 v[24:25], null, s9, v101, v[1:2]
	v_fmac_f32_e32 v12, v36, v13
	v_add_nc_u32_e32 v13, 44, v99
	v_lshlrev_b64 v[4:5], 3, v[5:6]
	v_lshlrev_b64 v[9:10], 3, v[9:10]
	v_fma_f32 v14, v34, v30, -v14
	v_mov_b32_e32 v1, v24
	v_mad_u64_u32 v[24:25], null, s8, v13, 0
	v_add_co_u32 v4, vcc_lo, v47, v4
	v_add_co_ci_u32_e32 v5, vcc_lo, v48, v5, vcc_lo
	v_lshlrev_b64 v[0:1], 3, v[0:1]
	v_mov_b32_e32 v6, v25
	global_store_dwordx2 v[4:5], v[16:17], off
	v_add_co_u32 v4, vcc_lo, v47, v9
	v_add_co_ci_u32_e32 v5, vcc_lo, v48, v10, vcc_lo
	v_mad_u64_u32 v[9:10], null, s9, v13, v[6:7]
	v_add_nc_u32_e32 v13, 0x44, v99
	v_mad_u64_u32 v[16:17], null, s8, v26, 0
	global_store_dwordx2 v[4:5], v[18:19], off
	v_add_co_u32 v0, vcc_lo, v47, v0
	v_mad_u64_u32 v[4:5], null, s8, v13, 0
	v_add_co_ci_u32_e32 v1, vcc_lo, v48, v1, vcc_lo
	v_mov_b32_e32 v25, v9
	v_mad_u64_u32 v[9:10], null, s8, v100, 0
	global_store_dwordx2 v[0:1], v[20:21], off
	v_mov_b32_e32 v0, v17
	v_mov_b32_e32 v1, v5
	v_lshlrev_b64 v[17:18], 3, v[24:25]
	v_mad_u64_u32 v[5:6], null, s9, v26, v[0:1]
	v_add_nc_u32_e32 v6, 0x5c, v99
	v_mad_u64_u32 v[0:1], null, s9, v13, v[1:2]
	v_mov_b32_e32 v1, v10
	v_add_co_u32 v24, vcc_lo, v47, v17
	v_mad_u64_u32 v[19:20], null, s8, v6, 0
	v_mov_b32_e32 v17, v5
	v_mov_b32_e32 v5, v0
	v_mad_u64_u32 v[0:1], null, s9, v100, v[1:2]
	v_add_co_ci_u32_e32 v25, vcc_lo, v48, v18, vcc_lo
	v_mov_b32_e32 v1, v20
	v_lshlrev_b64 v[16:17], 3, v[16:17]
	v_lshlrev_b64 v[4:5], 3, v[4:5]
	global_store_dwordx2 v[24:25], v[22:23], off
	v_mov_b32_e32 v10, v0
	v_mad_u64_u32 v[20:21], null, s9, v6, v[1:2]
	v_add_co_u32 v0, vcc_lo, v47, v16
	v_lshlrev_b64 v[9:10], 3, v[9:10]
	v_add_co_ci_u32_e32 v1, vcc_lo, v48, v17, vcc_lo
	v_add_co_u32 v4, vcc_lo, v47, v4
	v_lshlrev_b64 v[16:17], 3, v[19:20]
	v_add_co_ci_u32_e32 v5, vcc_lo, v48, v5, vcc_lo
	v_add_co_u32 v9, vcc_lo, v47, v9
	v_add_co_ci_u32_e32 v10, vcc_lo, v48, v10, vcc_lo
	v_add_co_u32 v16, vcc_lo, v47, v16
	v_add_co_ci_u32_e32 v17, vcc_lo, v48, v17, vcc_lo
	global_store_dwordx2 v[0:1], v[14:15], off
	global_store_dwordx2 v[4:5], v[7:8], off
	;; [unrolled: 1-line block ×4, first 2 shown]
	s_endpgm
	.section	.rodata,"a",@progbits
	.p2align	6, 0x0
	.amdhsa_kernel fft_rtc_fwd_len96_factors_4_3_8_wgs_192_tpt_8_dim3_sp_ip_CI_sbcc_twdbase8_3step_dirReg
		.amdhsa_group_segment_fixed_size 0
		.amdhsa_private_segment_fixed_size 0
		.amdhsa_kernarg_size 88
		.amdhsa_user_sgpr_count 6
		.amdhsa_user_sgpr_private_segment_buffer 1
		.amdhsa_user_sgpr_dispatch_ptr 0
		.amdhsa_user_sgpr_queue_ptr 0
		.amdhsa_user_sgpr_kernarg_segment_ptr 1
		.amdhsa_user_sgpr_dispatch_id 0
		.amdhsa_user_sgpr_flat_scratch_init 0
		.amdhsa_user_sgpr_private_segment_size 0
		.amdhsa_wavefront_size32 1
		.amdhsa_uses_dynamic_stack 0
		.amdhsa_system_sgpr_private_segment_wavefront_offset 0
		.amdhsa_system_sgpr_workgroup_id_x 1
		.amdhsa_system_sgpr_workgroup_id_y 0
		.amdhsa_system_sgpr_workgroup_id_z 0
		.amdhsa_system_sgpr_workgroup_info 0
		.amdhsa_system_vgpr_workitem_id 0
		.amdhsa_next_free_vgpr 162
		.amdhsa_next_free_sgpr 26
		.amdhsa_reserve_vcc 1
		.amdhsa_reserve_flat_scratch 0
		.amdhsa_float_round_mode_32 0
		.amdhsa_float_round_mode_16_64 0
		.amdhsa_float_denorm_mode_32 3
		.amdhsa_float_denorm_mode_16_64 3
		.amdhsa_dx10_clamp 1
		.amdhsa_ieee_mode 1
		.amdhsa_fp16_overflow 0
		.amdhsa_workgroup_processor_mode 1
		.amdhsa_memory_ordered 1
		.amdhsa_forward_progress 0
		.amdhsa_shared_vgpr_count 0
		.amdhsa_exception_fp_ieee_invalid_op 0
		.amdhsa_exception_fp_denorm_src 0
		.amdhsa_exception_fp_ieee_div_zero 0
		.amdhsa_exception_fp_ieee_overflow 0
		.amdhsa_exception_fp_ieee_underflow 0
		.amdhsa_exception_fp_ieee_inexact 0
		.amdhsa_exception_int_div_zero 0
	.end_amdhsa_kernel
	.text
.Lfunc_end0:
	.size	fft_rtc_fwd_len96_factors_4_3_8_wgs_192_tpt_8_dim3_sp_ip_CI_sbcc_twdbase8_3step_dirReg, .Lfunc_end0-fft_rtc_fwd_len96_factors_4_3_8_wgs_192_tpt_8_dim3_sp_ip_CI_sbcc_twdbase8_3step_dirReg
                                        ; -- End function
	.section	.AMDGPU.csdata,"",@progbits
; Kernel info:
; codeLenInByte = 8968
; NumSgprs: 28
; NumVgprs: 162
; ScratchSize: 0
; MemoryBound: 0
; FloatMode: 240
; IeeeMode: 1
; LDSByteSize: 0 bytes/workgroup (compile time only)
; SGPRBlocks: 3
; VGPRBlocks: 20
; NumSGPRsForWavesPerEU: 28
; NumVGPRsForWavesPerEU: 162
; Occupancy: 5
; WaveLimiterHint : 1
; COMPUTE_PGM_RSRC2:SCRATCH_EN: 0
; COMPUTE_PGM_RSRC2:USER_SGPR: 6
; COMPUTE_PGM_RSRC2:TRAP_HANDLER: 0
; COMPUTE_PGM_RSRC2:TGID_X_EN: 1
; COMPUTE_PGM_RSRC2:TGID_Y_EN: 0
; COMPUTE_PGM_RSRC2:TGID_Z_EN: 0
; COMPUTE_PGM_RSRC2:TIDIG_COMP_CNT: 0
	.text
	.p2alignl 6, 3214868480
	.fill 48, 4, 3214868480
	.type	__hip_cuid_b3d2ea918b525638,@object ; @__hip_cuid_b3d2ea918b525638
	.section	.bss,"aw",@nobits
	.globl	__hip_cuid_b3d2ea918b525638
__hip_cuid_b3d2ea918b525638:
	.byte	0                               ; 0x0
	.size	__hip_cuid_b3d2ea918b525638, 1

	.ident	"AMD clang version 19.0.0git (https://github.com/RadeonOpenCompute/llvm-project roc-6.4.0 25133 c7fe45cf4b819c5991fe208aaa96edf142730f1d)"
	.section	".note.GNU-stack","",@progbits
	.addrsig
	.addrsig_sym __hip_cuid_b3d2ea918b525638
	.amdgpu_metadata
---
amdhsa.kernels:
  - .args:
      - .actual_access:  read_only
        .address_space:  global
        .offset:         0
        .size:           8
        .value_kind:     global_buffer
      - .address_space:  global
        .offset:         8
        .size:           8
        .value_kind:     global_buffer
      - .actual_access:  read_only
        .address_space:  global
        .offset:         16
        .size:           8
        .value_kind:     global_buffer
      - .actual_access:  read_only
        .address_space:  global
        .offset:         24
        .size:           8
        .value_kind:     global_buffer
      - .offset:         32
        .size:           8
        .value_kind:     by_value
      - .actual_access:  read_only
        .address_space:  global
        .offset:         40
        .size:           8
        .value_kind:     global_buffer
      - .actual_access:  read_only
        .address_space:  global
        .offset:         48
        .size:           8
        .value_kind:     global_buffer
      - .offset:         56
        .size:           4
        .value_kind:     by_value
      - .actual_access:  read_only
        .address_space:  global
        .offset:         64
        .size:           8
        .value_kind:     global_buffer
      - .actual_access:  read_only
        .address_space:  global
        .offset:         72
        .size:           8
        .value_kind:     global_buffer
      - .address_space:  global
        .offset:         80
        .size:           8
        .value_kind:     global_buffer
    .group_segment_fixed_size: 0
    .kernarg_segment_align: 8
    .kernarg_segment_size: 88
    .language:       OpenCL C
    .language_version:
      - 2
      - 0
    .max_flat_workgroup_size: 192
    .name:           fft_rtc_fwd_len96_factors_4_3_8_wgs_192_tpt_8_dim3_sp_ip_CI_sbcc_twdbase8_3step_dirReg
    .private_segment_fixed_size: 0
    .sgpr_count:     28
    .sgpr_spill_count: 0
    .symbol:         fft_rtc_fwd_len96_factors_4_3_8_wgs_192_tpt_8_dim3_sp_ip_CI_sbcc_twdbase8_3step_dirReg.kd
    .uniform_work_group_size: 1
    .uses_dynamic_stack: false
    .vgpr_count:     162
    .vgpr_spill_count: 0
    .wavefront_size: 32
    .workgroup_processor_mode: 1
amdhsa.target:   amdgcn-amd-amdhsa--gfx1030
amdhsa.version:
  - 1
  - 2
...

	.end_amdgpu_metadata
